;; amdgpu-corpus repo=ROCm/rocFFT kind=compiled arch=gfx1201 opt=O3
	.text
	.amdgcn_target "amdgcn-amd-amdhsa--gfx1201"
	.amdhsa_code_object_version 6
	.protected	fft_rtc_back_len297_factors_9_3_11_wgs_231_tpt_33_halfLds_half_op_CI_CI_sbrr_dirReg ; -- Begin function fft_rtc_back_len297_factors_9_3_11_wgs_231_tpt_33_halfLds_half_op_CI_CI_sbrr_dirReg
	.globl	fft_rtc_back_len297_factors_9_3_11_wgs_231_tpt_33_halfLds_half_op_CI_CI_sbrr_dirReg
	.p2align	8
	.type	fft_rtc_back_len297_factors_9_3_11_wgs_231_tpt_33_halfLds_half_op_CI_CI_sbrr_dirReg,@function
fft_rtc_back_len297_factors_9_3_11_wgs_231_tpt_33_halfLds_half_op_CI_CI_sbrr_dirReg: ; @fft_rtc_back_len297_factors_9_3_11_wgs_231_tpt_33_halfLds_half_op_CI_CI_sbrr_dirReg
; %bb.0:
	s_clause 0x1
	s_load_b128 s[12:15], s[0:1], 0x18
	s_load_b128 s[8:11], s[0:1], 0x0
	v_mul_u32_u24_e32 v1, 0x7c2, v0
	v_mov_b32_e32 v5, 0
	v_mov_b32_e32 v3, 0
	v_mov_b32_e32 v4, 0
	s_load_b128 s[4:7], s[0:1], 0x58
	s_wait_kmcnt 0x0
	s_load_b64 s[18:19], s[12:13], 0x0
	s_load_b64 s[16:17], s[14:15], 0x0
	v_lshrrev_b32_e32 v1, 16, v1
	v_cmp_lt_u64_e64 s2, s[10:11], 2
	v_dual_mov_b32 v9, v4 :: v_dual_mov_b32 v8, v3
	s_delay_alu instid0(VALU_DEP_3) | instskip(SKIP_1) | instid1(VALU_DEP_4)
	v_mad_co_u64_u32 v[1:2], null, ttmp9, 7, v[1:2]
	v_mov_b32_e32 v2, v5
	s_and_b32 vcc_lo, exec_lo, s2
	s_delay_alu instid0(VALU_DEP_1)
	v_dual_mov_b32 v11, v2 :: v_dual_mov_b32 v10, v1
	s_cbranch_vccnz .LBB0_8
; %bb.1:
	s_load_b64 s[2:3], s[0:1], 0x10
	v_mov_b32_e32 v3, 0
	v_dual_mov_b32 v4, 0 :: v_dual_mov_b32 v13, v2
	v_mov_b32_e32 v12, v1
	s_add_nc_u64 s[20:21], s[14:15], 8
	s_add_nc_u64 s[22:23], s[12:13], 8
	s_delay_alu instid0(VALU_DEP_2)
	v_dual_mov_b32 v9, v4 :: v_dual_mov_b32 v8, v3
	s_mov_b64 s[24:25], 1
	s_wait_kmcnt 0x0
	s_add_nc_u64 s[26:27], s[2:3], 8
	s_mov_b32 s3, 0
.LBB0_2:                                ; =>This Inner Loop Header: Depth=1
	s_load_b64 s[28:29], s[26:27], 0x0
                                        ; implicit-def: $vgpr10_vgpr11
	s_mov_b32 s2, exec_lo
	s_wait_kmcnt 0x0
	v_or_b32_e32 v6, s29, v13
	s_delay_alu instid0(VALU_DEP_1)
	v_cmpx_ne_u64_e32 0, v[5:6]
	s_wait_alu 0xfffe
	s_xor_b32 s30, exec_lo, s2
	s_cbranch_execz .LBB0_4
; %bb.3:                                ;   in Loop: Header=BB0_2 Depth=1
	s_cvt_f32_u32 s2, s28
	s_cvt_f32_u32 s31, s29
	s_sub_nc_u64 s[36:37], 0, s[28:29]
	s_wait_alu 0xfffe
	s_delay_alu instid0(SALU_CYCLE_1) | instskip(SKIP_1) | instid1(SALU_CYCLE_2)
	s_fmamk_f32 s2, s31, 0x4f800000, s2
	s_wait_alu 0xfffe
	v_s_rcp_f32 s2, s2
	s_delay_alu instid0(TRANS32_DEP_1) | instskip(SKIP_1) | instid1(SALU_CYCLE_2)
	s_mul_f32 s2, s2, 0x5f7ffffc
	s_wait_alu 0xfffe
	s_mul_f32 s31, s2, 0x2f800000
	s_wait_alu 0xfffe
	s_delay_alu instid0(SALU_CYCLE_2) | instskip(SKIP_1) | instid1(SALU_CYCLE_2)
	s_trunc_f32 s31, s31
	s_wait_alu 0xfffe
	s_fmamk_f32 s2, s31, 0xcf800000, s2
	s_cvt_u32_f32 s35, s31
	s_wait_alu 0xfffe
	s_delay_alu instid0(SALU_CYCLE_1) | instskip(SKIP_1) | instid1(SALU_CYCLE_2)
	s_cvt_u32_f32 s34, s2
	s_wait_alu 0xfffe
	s_mul_u64 s[38:39], s[36:37], s[34:35]
	s_wait_alu 0xfffe
	s_mul_hi_u32 s41, s34, s39
	s_mul_i32 s40, s34, s39
	s_mul_hi_u32 s2, s34, s38
	s_mul_i32 s33, s35, s38
	s_wait_alu 0xfffe
	s_add_nc_u64 s[40:41], s[2:3], s[40:41]
	s_mul_hi_u32 s31, s35, s38
	s_mul_hi_u32 s42, s35, s39
	s_add_co_u32 s2, s40, s33
	s_wait_alu 0xfffe
	s_add_co_ci_u32 s2, s41, s31
	s_mul_i32 s38, s35, s39
	s_add_co_ci_u32 s39, s42, 0
	s_wait_alu 0xfffe
	s_add_nc_u64 s[38:39], s[2:3], s[38:39]
	s_wait_alu 0xfffe
	v_add_co_u32 v2, s2, s34, s38
	s_delay_alu instid0(VALU_DEP_1) | instskip(SKIP_1) | instid1(VALU_DEP_1)
	s_cmp_lg_u32 s2, 0
	s_add_co_ci_u32 s35, s35, s39
	v_readfirstlane_b32 s34, v2
	s_wait_alu 0xfffe
	s_delay_alu instid0(VALU_DEP_1)
	s_mul_u64 s[36:37], s[36:37], s[34:35]
	s_wait_alu 0xfffe
	s_mul_hi_u32 s39, s34, s37
	s_mul_i32 s38, s34, s37
	s_mul_hi_u32 s2, s34, s36
	s_mul_i32 s33, s35, s36
	s_wait_alu 0xfffe
	s_add_nc_u64 s[38:39], s[2:3], s[38:39]
	s_mul_hi_u32 s31, s35, s36
	s_mul_hi_u32 s34, s35, s37
	s_wait_alu 0xfffe
	s_add_co_u32 s2, s38, s33
	s_add_co_ci_u32 s2, s39, s31
	s_mul_i32 s36, s35, s37
	s_add_co_ci_u32 s37, s34, 0
	s_wait_alu 0xfffe
	s_add_nc_u64 s[36:37], s[2:3], s[36:37]
	s_wait_alu 0xfffe
	v_add_co_u32 v2, s2, v2, s36
	s_delay_alu instid0(VALU_DEP_1) | instskip(SKIP_1) | instid1(VALU_DEP_1)
	s_cmp_lg_u32 s2, 0
	s_add_co_ci_u32 s2, s35, s37
	v_mul_hi_u32 v16, v12, v2
	s_wait_alu 0xfffe
	v_mad_co_u64_u32 v[6:7], null, v12, s2, 0
	v_mad_co_u64_u32 v[10:11], null, v13, v2, 0
	;; [unrolled: 1-line block ×3, first 2 shown]
	s_delay_alu instid0(VALU_DEP_3) | instskip(SKIP_1) | instid1(VALU_DEP_4)
	v_add_co_u32 v2, vcc_lo, v16, v6
	s_wait_alu 0xfffd
	v_add_co_ci_u32_e32 v6, vcc_lo, 0, v7, vcc_lo
	s_delay_alu instid0(VALU_DEP_2) | instskip(SKIP_1) | instid1(VALU_DEP_2)
	v_add_co_u32 v2, vcc_lo, v2, v10
	s_wait_alu 0xfffd
	v_add_co_ci_u32_e32 v2, vcc_lo, v6, v11, vcc_lo
	s_wait_alu 0xfffd
	v_add_co_ci_u32_e32 v6, vcc_lo, 0, v15, vcc_lo
	s_delay_alu instid0(VALU_DEP_2) | instskip(SKIP_1) | instid1(VALU_DEP_2)
	v_add_co_u32 v2, vcc_lo, v2, v14
	s_wait_alu 0xfffd
	v_add_co_ci_u32_e32 v10, vcc_lo, 0, v6, vcc_lo
	s_delay_alu instid0(VALU_DEP_2) | instskip(SKIP_1) | instid1(VALU_DEP_3)
	v_mul_lo_u32 v11, s29, v2
	v_mad_co_u64_u32 v[6:7], null, s28, v2, 0
	v_mul_lo_u32 v14, s28, v10
	s_delay_alu instid0(VALU_DEP_2) | instskip(NEXT) | instid1(VALU_DEP_2)
	v_sub_co_u32 v6, vcc_lo, v12, v6
	v_add3_u32 v7, v7, v14, v11
	s_delay_alu instid0(VALU_DEP_1) | instskip(SKIP_1) | instid1(VALU_DEP_1)
	v_sub_nc_u32_e32 v11, v13, v7
	s_wait_alu 0xfffd
	v_subrev_co_ci_u32_e64 v11, s2, s29, v11, vcc_lo
	v_add_co_u32 v14, s2, v2, 2
	s_wait_alu 0xf1ff
	v_add_co_ci_u32_e64 v15, s2, 0, v10, s2
	v_sub_co_u32 v16, s2, v6, s28
	v_sub_co_ci_u32_e32 v7, vcc_lo, v13, v7, vcc_lo
	s_wait_alu 0xf1ff
	v_subrev_co_ci_u32_e64 v11, s2, 0, v11, s2
	s_delay_alu instid0(VALU_DEP_3) | instskip(NEXT) | instid1(VALU_DEP_3)
	v_cmp_le_u32_e32 vcc_lo, s28, v16
	v_cmp_eq_u32_e64 s2, s29, v7
	s_wait_alu 0xfffd
	v_cndmask_b32_e64 v16, 0, -1, vcc_lo
	v_cmp_le_u32_e32 vcc_lo, s29, v11
	s_wait_alu 0xfffd
	v_cndmask_b32_e64 v17, 0, -1, vcc_lo
	v_cmp_le_u32_e32 vcc_lo, s28, v6
	;; [unrolled: 3-line block ×3, first 2 shown]
	s_wait_alu 0xfffd
	v_cndmask_b32_e64 v18, 0, -1, vcc_lo
	v_cmp_eq_u32_e32 vcc_lo, s29, v11
	s_wait_alu 0xf1ff
	s_delay_alu instid0(VALU_DEP_2)
	v_cndmask_b32_e64 v6, v18, v6, s2
	s_wait_alu 0xfffd
	v_cndmask_b32_e32 v11, v17, v16, vcc_lo
	v_add_co_u32 v16, vcc_lo, v2, 1
	s_wait_alu 0xfffd
	v_add_co_ci_u32_e32 v17, vcc_lo, 0, v10, vcc_lo
	s_delay_alu instid0(VALU_DEP_3) | instskip(SKIP_1) | instid1(VALU_DEP_2)
	v_cmp_ne_u32_e32 vcc_lo, 0, v11
	s_wait_alu 0xfffd
	v_dual_cndmask_b32 v14, v16, v14 :: v_dual_cndmask_b32 v7, v17, v15
	v_cmp_ne_u32_e32 vcc_lo, 0, v6
	s_wait_alu 0xfffd
	s_delay_alu instid0(VALU_DEP_2) | instskip(NEXT) | instid1(VALU_DEP_3)
	v_cndmask_b32_e32 v11, v10, v7, vcc_lo
	v_cndmask_b32_e32 v10, v2, v14, vcc_lo
.LBB0_4:                                ;   in Loop: Header=BB0_2 Depth=1
	s_wait_alu 0xfffe
	s_and_not1_saveexec_b32 s2, s30
	s_cbranch_execz .LBB0_6
; %bb.5:                                ;   in Loop: Header=BB0_2 Depth=1
	v_cvt_f32_u32_e32 v2, s28
	s_sub_co_i32 s30, 0, s28
	v_mov_b32_e32 v11, v5
	s_delay_alu instid0(VALU_DEP_2) | instskip(NEXT) | instid1(TRANS32_DEP_1)
	v_rcp_iflag_f32_e32 v2, v2
	v_mul_f32_e32 v2, 0x4f7ffffe, v2
	s_delay_alu instid0(VALU_DEP_1) | instskip(SKIP_1) | instid1(VALU_DEP_1)
	v_cvt_u32_f32_e32 v2, v2
	s_wait_alu 0xfffe
	v_mul_lo_u32 v6, s30, v2
	s_delay_alu instid0(VALU_DEP_1) | instskip(NEXT) | instid1(VALU_DEP_1)
	v_mul_hi_u32 v6, v2, v6
	v_add_nc_u32_e32 v2, v2, v6
	s_delay_alu instid0(VALU_DEP_1) | instskip(NEXT) | instid1(VALU_DEP_1)
	v_mul_hi_u32 v2, v12, v2
	v_mul_lo_u32 v6, v2, s28
	v_add_nc_u32_e32 v7, 1, v2
	s_delay_alu instid0(VALU_DEP_2) | instskip(NEXT) | instid1(VALU_DEP_1)
	v_sub_nc_u32_e32 v6, v12, v6
	v_subrev_nc_u32_e32 v10, s28, v6
	v_cmp_le_u32_e32 vcc_lo, s28, v6
	s_wait_alu 0xfffd
	s_delay_alu instid0(VALU_DEP_2) | instskip(SKIP_1) | instid1(VALU_DEP_2)
	v_cndmask_b32_e32 v6, v6, v10, vcc_lo
	v_cndmask_b32_e32 v2, v2, v7, vcc_lo
	v_cmp_le_u32_e32 vcc_lo, s28, v6
	s_delay_alu instid0(VALU_DEP_2) | instskip(SKIP_1) | instid1(VALU_DEP_1)
	v_add_nc_u32_e32 v7, 1, v2
	s_wait_alu 0xfffd
	v_cndmask_b32_e32 v10, v2, v7, vcc_lo
.LBB0_6:                                ;   in Loop: Header=BB0_2 Depth=1
	s_wait_alu 0xfffe
	s_or_b32 exec_lo, exec_lo, s2
	v_mul_lo_u32 v2, v11, s28
	s_delay_alu instid0(VALU_DEP_2)
	v_mul_lo_u32 v14, v10, s29
	s_load_b64 s[30:31], s[22:23], 0x0
	v_mad_co_u64_u32 v[6:7], null, v10, s28, 0
	s_load_b64 s[28:29], s[20:21], 0x0
	s_add_nc_u64 s[24:25], s[24:25], 1
	s_add_nc_u64 s[20:21], s[20:21], 8
	s_wait_alu 0xfffe
	v_cmp_ge_u64_e64 s2, s[24:25], s[10:11]
	s_add_nc_u64 s[22:23], s[22:23], 8
	s_add_nc_u64 s[26:27], s[26:27], 8
	v_add3_u32 v2, v7, v14, v2
	v_sub_co_u32 v6, vcc_lo, v12, v6
	s_wait_alu 0xfffd
	s_delay_alu instid0(VALU_DEP_2) | instskip(SKIP_2) | instid1(VALU_DEP_1)
	v_sub_co_ci_u32_e32 v2, vcc_lo, v13, v2, vcc_lo
	s_and_b32 vcc_lo, exec_lo, s2
	s_wait_kmcnt 0x0
	v_mul_lo_u32 v7, s30, v2
	v_mul_lo_u32 v12, s31, v6
	v_mad_co_u64_u32 v[3:4], null, s30, v6, v[3:4]
	v_mul_lo_u32 v2, s28, v2
	v_mul_lo_u32 v13, s29, v6
	v_mad_co_u64_u32 v[8:9], null, s28, v6, v[8:9]
	s_delay_alu instid0(VALU_DEP_4) | instskip(NEXT) | instid1(VALU_DEP_2)
	v_add3_u32 v4, v12, v4, v7
	v_add3_u32 v9, v13, v9, v2
	s_wait_alu 0xfffe
	s_cbranch_vccnz .LBB0_8
; %bb.7:                                ;   in Loop: Header=BB0_2 Depth=1
	v_dual_mov_b32 v13, v11 :: v_dual_mov_b32 v12, v10
	s_branch .LBB0_2
.LBB0_8:
	s_load_b64 s[0:1], s[0:1], 0x28
	v_mul_hi_u32 v24, 0x7c1f07d, v0
	s_lshl_b64 s[10:11], s[10:11], 3
                                        ; implicit-def: $sgpr2
                                        ; implicit-def: $vgpr16
                                        ; implicit-def: $vgpr2
                                        ; implicit-def: $vgpr5
	s_wait_kmcnt 0x0
	v_cmp_gt_u64_e32 vcc_lo, s[0:1], v[10:11]
	v_cmp_le_u64_e64 s0, s[0:1], v[10:11]
	s_delay_alu instid0(VALU_DEP_1)
	s_and_saveexec_b32 s1, s0
	s_wait_alu 0xfffe
	s_xor_b32 s0, exec_lo, s1
; %bb.9:
	v_mul_u32_u24_e32 v2, 33, v24
	s_mov_b32 s2, 0
                                        ; implicit-def: $vgpr24
                                        ; implicit-def: $vgpr3_vgpr4
	s_delay_alu instid0(VALU_DEP_1) | instskip(NEXT) | instid1(VALU_DEP_1)
	v_sub_nc_u32_e32 v16, v0, v2
                                        ; implicit-def: $vgpr0
	v_add_nc_u32_e32 v2, 33, v16
	v_add_nc_u32_e32 v5, 0x42, v16
; %bb.10:
	s_wait_alu 0xfffe
	s_or_saveexec_b32 s1, s0
	v_dual_mov_b32 v19, s2 :: v_dual_mov_b32 v20, s2
	v_dual_mov_b32 v21, s2 :: v_dual_mov_b32 v14, s2
	s_add_nc_u64 s[2:3], s[14:15], s[10:11]
                                        ; implicit-def: $vgpr7
                                        ; implicit-def: $vgpr6
                                        ; implicit-def: $vgpr13
                                        ; implicit-def: $vgpr12
                                        ; implicit-def: $vgpr15
                                        ; implicit-def: $vgpr22
                                        ; implicit-def: $vgpr17
                                        ; implicit-def: $vgpr23
                                        ; implicit-def: $vgpr18
                                        ; implicit-def: $vgpr25
	s_wait_alu 0xfffe
	s_xor_b32 exec_lo, exec_lo, s1
	s_cbranch_execz .LBB0_12
; %bb.11:
	v_mul_u32_u24_e32 v2, 33, v24
	s_add_nc_u64 s[10:11], s[12:13], s[10:11]
	v_lshlrev_b64_e32 v[3:4], 2, v[3:4]
	s_load_b64 s[10:11], s[10:11], 0x0
	s_delay_alu instid0(VALU_DEP_2) | instskip(NEXT) | instid1(VALU_DEP_1)
	v_sub_nc_u32_e32 v16, v0, v2
	v_mad_co_u64_u32 v[6:7], null, s18, v16, 0
	v_add_nc_u32_e32 v5, 0x42, v16
	v_add_nc_u32_e32 v29, 0xc6, v16
	s_delay_alu instid0(VALU_DEP_3) | instskip(NEXT) | instid1(VALU_DEP_3)
	v_dual_mov_b32 v0, v7 :: v_dual_add_nc_u32 v31, 0xe7, v16
	v_mad_co_u64_u32 v[14:15], null, s18, v5, 0
	v_add_nc_u32_e32 v2, 33, v16
	s_wait_kmcnt 0x0
	v_mul_lo_u32 v7, s11, v10
	v_mul_lo_u32 v23, s10, v11
	v_mad_co_u64_u32 v[19:20], null, s10, v10, 0
	v_mad_co_u64_u32 v[12:13], null, s18, v2, 0
	v_add_nc_u32_e32 v25, 0x63, v16
	v_mad_co_u64_u32 v[21:22], null, s19, v16, v[0:1]
	s_delay_alu instid0(VALU_DEP_4) | instskip(NEXT) | instid1(VALU_DEP_4)
	v_add3_u32 v20, v20, v23, v7
	v_mov_b32_e32 v0, v13
	s_delay_alu instid0(VALU_DEP_4) | instskip(SKIP_1) | instid1(VALU_DEP_3)
	v_mad_co_u64_u32 v[17:18], null, s18, v25, 0
	v_dual_mov_b32 v13, v15 :: v_dual_add_nc_u32 v28, 0x84, v16
	v_mad_co_u64_u32 v[22:23], null, s19, v2, v[0:1]
	v_mov_b32_e32 v7, v21
	s_delay_alu instid0(VALU_DEP_4) | instskip(SKIP_3) | instid1(VALU_DEP_4)
	v_mov_b32_e32 v15, v18
	v_lshlrev_b64_e32 v[18:19], 2, v[19:20]
	v_mad_co_u64_u32 v[23:24], null, s19, v5, v[13:14]
	v_mov_b32_e32 v13, v22
	v_mad_co_u64_u32 v[20:21], null, s19, v25, v[15:16]
	s_delay_alu instid0(VALU_DEP_4) | instskip(SKIP_3) | instid1(VALU_DEP_3)
	v_add_co_u32 v0, s0, s4, v18
	s_wait_alu 0xf1ff
	v_add_co_ci_u32_e64 v18, s0, s5, v19, s0
	v_mov_b32_e32 v15, v23
	v_add_co_u32 v32, s0, v0, v3
	s_wait_alu 0xf1ff
	s_delay_alu instid0(VALU_DEP_3)
	v_add_co_ci_u32_e64 v33, s0, v18, v4, s0
	v_mov_b32_e32 v18, v20
	v_lshlrev_b64_e32 v[6:7], 2, v[6:7]
	v_lshlrev_b64_e32 v[3:4], 2, v[12:13]
	;; [unrolled: 1-line block ×3, first 2 shown]
	v_mad_co_u64_u32 v[14:15], null, s18, v28, 0
	v_mad_co_u64_u32 v[21:22], null, s18, v31, 0
	v_add_co_u32 v6, s0, v32, v6
	s_wait_alu 0xf1ff
	v_add_co_ci_u32_e64 v7, s0, v33, v7, s0
	v_add_co_u32 v3, s0, v32, v3
	s_wait_alu 0xf1ff
	v_add_co_ci_u32_e64 v4, s0, v33, v4, s0
	;; [unrolled: 3-line block ×3, first 2 shown]
	v_mad_co_u64_u32 v[12:13], null, s18, v29, 0
	v_dual_mov_b32 v0, v15 :: v_dual_add_nc_u32 v25, 0xa5, v16
	global_load_b32 v6, v[6:7], off
	v_lshlrev_b64_e32 v[17:18], 2, v[17:18]
	v_mad_co_u64_u32 v[23:24], null, s19, v28, v[0:1]
	v_mov_b32_e32 v0, v13
	s_delay_alu instid0(VALU_DEP_3) | instskip(SKIP_1) | instid1(VALU_DEP_4)
	v_add_co_u32 v17, s0, v32, v17
	s_wait_alu 0xf1ff
	v_add_co_ci_u32_e64 v18, s0, v33, v18, s0
	s_delay_alu instid0(VALU_DEP_3) | instskip(SKIP_3) | instid1(VALU_DEP_3)
	v_mad_co_u64_u32 v[28:29], null, s19, v29, v[0:1]
	v_mov_b32_e32 v0, v22
	v_mad_co_u64_u32 v[19:20], null, s18, v25, 0
	v_mov_b32_e32 v15, v23
	;; [unrolled: 2-line block ×3, first 2 shown]
	s_delay_alu instid0(VALU_DEP_3) | instskip(SKIP_1) | instid1(VALU_DEP_3)
	v_lshlrev_b64_e32 v[14:15], 2, v[14:15]
	v_mov_b32_e32 v7, v20
	v_lshlrev_b64_e32 v[12:13], 2, v[12:13]
	v_lshlrev_b64_e32 v[21:22], 2, v[21:22]
	s_delay_alu instid0(VALU_DEP_3) | instskip(SKIP_1) | instid1(VALU_DEP_1)
	v_mad_co_u64_u32 v[24:25], null, s19, v25, v[7:8]
	v_add_nc_u32_e32 v7, 0x108, v16
	v_mad_co_u64_u32 v[29:30], null, s18, v7, 0
	s_delay_alu instid0(VALU_DEP_3) | instskip(NEXT) | instid1(VALU_DEP_1)
	v_mov_b32_e32 v20, v24
	v_lshlrev_b64_e32 v[19:20], 2, v[19:20]
	s_delay_alu instid0(VALU_DEP_3) | instskip(NEXT) | instid1(VALU_DEP_1)
	v_mov_b32_e32 v0, v30
	v_mad_co_u64_u32 v[23:24], null, s19, v7, v[0:1]
	s_delay_alu instid0(VALU_DEP_3) | instskip(SKIP_1) | instid1(VALU_DEP_4)
	v_add_co_u32 v19, s0, v32, v19
	s_wait_alu 0xf1ff
	v_add_co_ci_u32_e64 v20, s0, v33, v20, s0
	s_delay_alu instid0(VALU_DEP_3) | instskip(SKIP_3) | instid1(VALU_DEP_3)
	v_mov_b32_e32 v30, v23
	v_add_co_u32 v23, s0, v32, v12
	s_wait_alu 0xf1ff
	v_add_co_ci_u32_e64 v24, s0, v33, v13, s0
	v_lshlrev_b64_e32 v[12:13], 2, v[29:30]
	v_add_co_u32 v28, s0, v32, v21
	s_wait_alu 0xf1ff
	v_add_co_ci_u32_e64 v29, s0, v33, v22, s0
	s_delay_alu instid0(VALU_DEP_3)
	v_add_co_u32 v30, s0, v32, v12
	s_wait_alu 0xf1ff
	v_add_co_ci_u32_e64 v31, s0, v33, v13, s0
	v_add_co_u32 v13, s0, v32, v14
	s_wait_alu 0xf1ff
	v_add_co_ci_u32_e64 v14, s0, v33, v15, s0
	s_clause 0x7
	global_load_b32 v12, v[19:20], off
	global_load_b32 v22, v[23:24], off
	global_load_b32 v23, v[28:29], off
	global_load_b32 v25, v[30:31], off
	global_load_b32 v19, v[3:4], off
	global_load_b32 v20, v[26:27], off
	global_load_b32 v21, v[17:18], off
	global_load_b32 v14, v[13:14], off
	s_wait_loadcnt 0x8
	v_lshrrev_b32_e32 v7, 16, v6
	s_wait_loadcnt 0x7
	v_lshrrev_b32_e32 v13, 16, v12
	;; [unrolled: 2-line block ×5, first 2 shown]
.LBB0_12:
	s_or_b32 exec_lo, exec_lo, s1
	v_mul_hi_u32 v0, 0x24924925, v1
	s_wait_loadcnt 0x2
	v_lshrrev_b32_e32 v24, 16, v20
	v_add_f16_e32 v26, v23, v20
	v_sub_f16_e32 v20, v20, v23
	v_add_f16_e32 v4, v25, v19
	v_lshrrev_b32_e32 v3, 16, v19
	s_wait_loadcnt 0x1
	v_lshrrev_b32_e32 v27, 16, v21
	v_add_f16_e32 v28, v22, v21
	v_sub_nc_u32_e32 v29, v1, v0
	v_sub_f16_e32 v21, v21, v22
	s_wait_loadcnt 0x0
	v_lshrrev_b32_e32 v22, 16, v14
	v_add_f16_e32 v31, v17, v24
	v_sub_f16_e32 v17, v24, v17
	v_lshrrev_b32_e32 v23, 1, v29
	v_add_f16_e32 v38, v4, v26
	v_add_f16_e32 v30, v18, v3
	v_sub_f16_e32 v3, v3, v18
	v_mul_f16_e32 v24, 0x3be1, v17
	v_add_nc_u32_e32 v0, v23, v0
	v_sub_f16_e32 v33, v22, v13
	v_add_f16_e32 v42, v38, v28
	v_sub_f16_e32 v19, v19, v25
	v_sub_f16_e32 v25, v14, v12
	v_lshrrev_b32_e32 v0, 2, v0
	v_add_f16_e32 v29, v12, v14
	v_add_f16_e32 v23, v15, v27
	v_sub_f16_e32 v15, v27, v15
	v_fmac_f16_e32 v24, 0x3924, v3
	v_mul_lo_u32 v0, v0, 7
	v_add_f16_e32 v14, v42, v14
	v_mul_f16_e32 v18, 0x3be1, v20
	v_fmamk_f16 v27, v4, 0x3a21, v6
	v_fmac_f16_e32 v24, 0x3aee, v15
	v_fmamk_f16 v35, v29, 0x3a21, v6
	v_add_f16_e32 v12, v12, v14
	v_fmac_f16_e32 v18, 0x3924, v19
	v_sub_nc_u32_e32 v0, v1, v0
	v_mul_f16_e32 v1, 0xb924, v33
	v_fmac_f16_e32 v24, 0x3579, v33
	v_mul_f16_e32 v36, 0xb924, v25
	v_add_f16_e32 v40, v3, v33
	v_add_f16_e32 v41, v30, v31
	v_fmac_f16_e32 v1, 0x3be1, v3
	v_add_f16_e32 v45, v6, v28
	v_mul_f16_e32 v33, 0x3be1, v33
	v_add_f16_e32 v12, v6, v12
	v_fmac_f16_e32 v6, 0x3a21, v26
	v_fmac_f16_e32 v1, 0xbaee, v15
	v_fmac_f16_e32 v18, 0x3aee, v21
	v_fmac_f16_e32 v35, 0x318f, v4
	v_fmac_f16_e32 v36, 0x3be1, v19
	v_sub_f16_e32 v40, v40, v17
	v_fmac_f16_e32 v1, 0x3579, v17
	v_add_f16_e32 v43, v41, v23
	v_fma_f16 v17, v17, 0xb924, -v33
	v_fmac_f16_e32 v6, 0x318f, v29
	v_fmac_f16_e32 v27, 0x318f, v26
	v_fmac_f16_e32 v18, 0x3579, v25
	v_add_f16_e32 v34, v13, v22
	v_fmac_f16_e32 v35, -0.5, v28
	v_fmac_f16_e32 v36, 0xbaee, v21
	v_add_f16_e32 v39, v19, v25
	v_add_f16_e32 v22, v43, v22
	;; [unrolled: 1-line block ×3, first 2 shown]
	v_mul_f16_e32 v25, 0x3be1, v25
	v_fmac_f16_e32 v17, 0x3aee, v15
	v_fmac_f16_e32 v6, -0.5, v28
	v_fmac_f16_e32 v27, -0.5, v28
	v_mul_u32_u24_e32 v0, 0x129, v0
	v_fmac_f16_e32 v35, 0xbb84, v26
	v_fmac_f16_e32 v36, 0x3579, v20
	v_sub_f16_e32 v39, v39, v20
	v_add_f16_e32 v13, v13, v22
	v_fmac_f16_e32 v45, -0.5, v14
	v_fma_f16 v20, v20, 0xb924, -v25
	v_fmac_f16_e32 v17, 0x3579, v3
	v_fmac_f16_e32 v6, 0xbb84, v4
	v_fmamk_f16 v37, v34, 0x3a21, v7
	v_fmamk_f16 v32, v30, 0x3a21, v7
	v_fmac_f16_e32 v27, 0xbb84, v29
	v_sub_f16_e32 v35, v35, v1
	v_mul_f16_e32 v44, 0x3aee, v40
	v_add_f16_e32 v43, v7, v23
	v_add_f16_e32 v26, v7, v13
	v_fmac_f16_e32 v7, 0x3a21, v31
	v_fmac_f16_e32 v20, 0x3aee, v21
	v_lshlrev_b32_e32 v21, 1, v0
	v_fmac_f16_e32 v45, 0xbaee, v40
	v_sub_f16_e32 v0, v6, v17
	v_fmac_f16_e32 v37, 0x318f, v30
	v_sub_f16_e32 v27, v27, v24
	v_fma_f16 v1, 2.0, v1, v35
	v_add_f16_e32 v22, v41, v34
	v_fmac_f16_e32 v7, 0x318f, v34
	v_add_nc_u32_e32 v3, 0, v21
	v_fma_f16 v4, 2.0, v44, v45
	v_fma_f16 v6, 2.0, v17, v0
	v_fmac_f16_e32 v37, -0.5, v23
	v_fmac_f16_e32 v43, -0.5, v22
	;; [unrolled: 1-line block ×3, first 2 shown]
	v_mad_u32_u24 v22, v16, 18, v3
	v_pack_b32_f16 v13, v35, v45
	v_pack_b32_f16 v15, v4, v1
	;; [unrolled: 1-line block ×4, first 2 shown]
	v_fma_f16 v24, 2.0, v24, v27
	v_fmac_f16_e32 v32, 0x318f, v31
	v_fmac_f16_e32 v37, 0xbb84, v31
	s_load_b64 s[2:3], s[2:3], 0x0
	v_fmac_f16_e32 v20, 0x3579, v19
	v_fmac_f16_e32 v7, 0xbb84, v30
	ds_store_b128 v22, v[12:15]
	ds_store_b16 v22, v24 offset:16
	v_lshl_add_u32 v1, v16, 1, v3
	v_lshl_add_u32 v24, v2, 1, v3
	;; [unrolled: 1-line block ×3, first 2 shown]
	v_and_b32_e32 v3, 0xff, v16
	v_and_b32_e32 v12, 0xff, v2
	v_fmac_f16_e32 v32, -0.5, v23
	v_add_f16_e32 v37, v36, v37
	v_mul_f16_e32 v42, 0x3aee, v39
	v_fmac_f16_e32 v43, 0x3aee, v39
	v_and_b32_e32 v14, 0xff, v5
	v_add_f16_e32 v7, v20, v7
	v_mul_lo_u16 v3, v3, 57
	v_mul_lo_u16 v12, v12, 57
	v_fmac_f16_e32 v32, 0xbb84, v34
	v_fma_f16 v6, -2.0, v36, v37
	v_fma_f16 v23, -2.0, v42, v43
	v_mul_lo_u16 v25, v14, 57
	v_fma_f16 v20, -2.0, v20, v7
	v_lshrrev_b16 v3, 9, v3
	v_lshrrev_b16 v33, 9, v12
	v_add_f16_e32 v32, v18, v32
	v_pack_b32_f16 v15, v23, v6
	v_lshrrev_b16 v6, 9, v25
	v_lshlrev_b32_e32 v0, 4, v16
	v_pack_b32_f16 v14, v7, v20
	v_mul_lo_u16 v7, v3, 9
	v_mul_lo_u16 v20, v33, 9
	v_pack_b32_f16 v13, v37, v43
	v_pack_b32_f16 v12, v26, v32
	v_mul_lo_u16 v23, v6, 9
	v_fma_f16 v4, -2.0, v18, v32
	v_sub_nc_u32_e32 v0, v22, v0
	v_sub_nc_u16 v7, v16, v7
	v_sub_nc_u16 v2, v2, v20
	global_wb scope:SCOPE_SE
	s_wait_dscnt 0x0
	s_wait_kmcnt 0x0
	s_barrier_signal -1
	s_barrier_wait -1
	global_inv scope:SCOPE_SE
	ds_load_u16 v18, v1
	ds_load_u16 v30, v0 offset:198
	ds_load_u16 v31, v0 offset:264
	;; [unrolled: 1-line block ×3, first 2 shown]
	ds_load_u16 v19, v29
	ds_load_u16 v17, v24
	ds_load_u16 v38, v0 offset:528
	ds_load_u16 v34, v0 offset:396
	;; [unrolled: 1-line block ×3, first 2 shown]
	global_wb scope:SCOPE_SE
	s_wait_dscnt 0x0
	s_barrier_signal -1
	s_barrier_wait -1
	global_inv scope:SCOPE_SE
	ds_store_b128 v22, v[12:15]
	ds_store_b16 v22, v4 offset:16
	v_sub_nc_u16 v4, v5, v23
	v_and_b32_e32 v5, 0xff, v7
	v_and_b32_e32 v2, 0xff, v2
	global_wb scope:SCOPE_SE
	s_wait_dscnt 0x0
	s_barrier_signal -1
	v_and_b32_e32 v4, 0xff, v4
	v_lshlrev_b32_e32 v7, 3, v5
	v_lshlrev_b32_e32 v12, 3, v2
	s_barrier_wait -1
	global_inv scope:SCOPE_SE
	v_lshlrev_b32_e32 v15, 3, v4
	s_clause 0x2
	global_load_b64 v[13:14], v7, s[8:9]
	global_load_b64 v[25:26], v12, s[8:9]
	;; [unrolled: 1-line block ×3, first 2 shown]
	ds_load_u16 v23, v1
	ds_load_u16 v15, v0 offset:198
	ds_load_u16 v20, v0 offset:396
	;; [unrolled: 1-line block ×4, first 2 shown]
	ds_load_u16 v22, v24
	ds_load_u16 v40, v0 offset:528
	ds_load_u16 v41, v0 offset:330
	ds_load_u16 v24, v29
	v_and_b32_e32 v3, 0xffff, v3
	v_and_b32_e32 v7, 0xffff, v33
	;; [unrolled: 1-line block ×3, first 2 shown]
	v_lshlrev_b32_e32 v5, 1, v5
	v_lshlrev_b32_e32 v2, 1, v2
	v_mad_u32_u24 v3, v3, 54, 0
	v_mad_u32_u24 v7, v7, 54, 0
	;; [unrolled: 1-line block ×3, first 2 shown]
	v_lshlrev_b32_e32 v12, 1, v4
	v_cmp_gt_u32_e64 s0, 27, v16
	v_add3_u32 v3, v3, v5, v21
	v_add3_u32 v4, v7, v2, v21
	global_wb scope:SCOPE_SE
	s_wait_loadcnt_dscnt 0x0
	v_add3_u32 v2, v6, v12, v21
	s_barrier_signal -1
	s_barrier_wait -1
	global_inv scope:SCOPE_SE
	v_lshrrev_b32_e32 v5, 16, v13
	v_lshrrev_b32_e32 v6, 16, v14
	;; [unrolled: 1-line block ×6, first 2 shown]
	v_mul_f16_e32 v21, v15, v5
	v_mul_f16_e32 v42, v30, v5
	;; [unrolled: 1-line block ×12, first 2 shown]
	v_fmac_f16_e32 v21, v30, v13
	v_fmac_f16_e32 v33, v34, v14
	;; [unrolled: 1-line block ×6, first 2 shown]
	v_fma_f16 v35, v15, v13, -v42
	v_fma_f16 v15, v20, v14, -v43
	;; [unrolled: 1-line block ×6, first 2 shown]
	v_add_f16_e32 v25, v21, v33
	v_add_f16_e32 v28, v5, v7
	;; [unrolled: 1-line block ×4, first 2 shown]
	v_sub_f16_e32 v27, v35, v15
	v_add_f16_e32 v26, v17, v5
	v_sub_f16_e32 v30, v34, v13
	v_add_f16_e32 v29, v19, v6
	v_sub_f16_e32 v36, v32, v14
	v_fmac_f16_e32 v18, -0.5, v25
	v_fmac_f16_e32 v17, -0.5, v28
	;; [unrolled: 1-line block ×3, first 2 shown]
	v_add_f16_e32 v20, v20, v33
	v_add_f16_e32 v26, v26, v7
	;; [unrolled: 1-line block ×3, first 2 shown]
	v_fmamk_f16 v29, v27, 0xbaee, v18
	v_fmac_f16_e32 v18, 0x3aee, v27
	v_fmamk_f16 v27, v30, 0xbaee, v17
	v_fmac_f16_e32 v17, 0x3aee, v30
	;; [unrolled: 2-line block ×3, first 2 shown]
	ds_store_b16 v3, v20
	ds_store_b16 v3, v29 offset:18
	ds_store_b16 v3, v18 offset:36
	ds_store_b16 v4, v26
	ds_store_b16 v4, v27 offset:18
	ds_store_b16 v4, v17 offset:36
	;; [unrolled: 3-line block ×3, first 2 shown]
	global_wb scope:SCOPE_SE
	s_wait_dscnt 0x0
	s_barrier_signal -1
	s_barrier_wait -1
	global_inv scope:SCOPE_SE
                                        ; implicit-def: $vgpr31
                                        ; implicit-def: $vgpr30
	s_and_saveexec_b32 s1, s0
	s_cbranch_execz .LBB0_14
; %bb.13:
	ds_load_u16 v20, v1
	ds_load_u16 v29, v0 offset:54
	ds_load_u16 v18, v0 offset:108
	ds_load_u16 v26, v0 offset:162
	ds_load_u16 v27, v0 offset:216
	ds_load_u16 v17, v0 offset:270
	ds_load_u16 v25, v0 offset:324
	ds_load_u16 v28, v0 offset:378
	ds_load_u16 v19, v0 offset:432
	ds_load_u16 v30, v0 offset:486
	ds_load_u16 v31, v0 offset:540
.LBB0_14:
	s_wait_alu 0xfffe
	s_or_b32 exec_lo, exec_lo, s1
	v_add_f16_e32 v36, v35, v15
	v_add_f16_e32 v37, v34, v13
	;; [unrolled: 1-line block ×4, first 2 shown]
	v_sub_f16_e32 v33, v21, v33
	v_fmac_f16_e32 v23, -0.5, v36
	v_add_f16_e32 v36, v22, v34
	v_fmac_f16_e32 v22, -0.5, v37
	v_sub_f16_e32 v5, v5, v7
	v_add_f16_e32 v7, v24, v32
	v_fmac_f16_e32 v24, -0.5, v38
	v_sub_f16_e32 v6, v6, v12
	v_add_f16_e32 v21, v35, v15
	v_fmamk_f16 v34, v33, 0x3aee, v23
	v_fmac_f16_e32 v23, 0xbaee, v33
	v_add_f16_e32 v35, v36, v13
	v_fmamk_f16 v32, v5, 0x3aee, v22
	v_fmac_f16_e32 v22, 0xbaee, v5
	;; [unrolled: 3-line block ×3, first 2 shown]
	global_wb scope:SCOPE_SE
	s_wait_dscnt 0x0
	s_barrier_signal -1
	s_barrier_wait -1
	global_inv scope:SCOPE_SE
	ds_store_b16 v3, v21
	ds_store_b16 v3, v34 offset:18
	ds_store_b16 v3, v23 offset:36
	ds_store_b16 v4, v35
	ds_store_b16 v4, v32 offset:18
	ds_store_b16 v4, v22 offset:36
	;; [unrolled: 3-line block ×3, first 2 shown]
	global_wb scope:SCOPE_SE
	s_wait_dscnt 0x0
	s_barrier_signal -1
	s_barrier_wait -1
	global_inv scope:SCOPE_SE
                                        ; implicit-def: $vgpr38
                                        ; implicit-def: $vgpr37
	s_and_saveexec_b32 s1, s0
	s_cbranch_execz .LBB0_16
; %bb.15:
	ds_load_u16 v21, v1
	ds_load_u16 v34, v0 offset:54
	ds_load_u16 v23, v0 offset:108
	;; [unrolled: 1-line block ×10, first 2 shown]
.LBB0_16:
	s_wait_alu 0xfffe
	s_or_b32 exec_lo, exec_lo, s1
	v_cmp_gt_u32_e64 s1, 27, v16
	s_delay_alu instid0(VALU_DEP_1)
	s_and_b32 s1, vcc_lo, s1
	s_wait_alu 0xfffe
	s_and_saveexec_b32 s4, s1
	s_cbranch_execz .LBB0_18
; %bb.17:
	v_subrev_nc_u32_e32 v0, 27, v16
	v_dual_mov_b32 v1, 0 :: v_dual_add_nc_u32 v42, 54, v16
	v_add_nc_u32_e32 v43, 0x51, v16
	v_mad_co_u64_u32 v[14:15], null, s16, v16, 0
	s_delay_alu instid0(VALU_DEP_4) | instskip(NEXT) | instid1(VALU_DEP_4)
	v_cndmask_b32_e64 v0, v0, v16, s0
	v_mad_co_u64_u32 v[47:48], null, s16, v42, 0
	v_add_nc_u32_e32 v41, 27, v16
	v_mul_lo_u32 v39, s3, v10
	s_delay_alu instid0(VALU_DEP_4) | instskip(SKIP_3) | instid1(VALU_DEP_4)
	v_mul_i32_i24_e32 v0, 10, v0
	v_mul_lo_u32 v40, s2, v11
	v_mad_co_u64_u32 v[10:11], null, s2, v10, 0
	v_mad_co_u64_u32 v[45:46], null, s16, v41, 0
	v_lshlrev_b64_e32 v[0:1], 2, v[0:1]
	v_add_nc_u32_e32 v44, 0x6c, v16
	v_mad_co_u64_u32 v[49:50], null, s16, v43, 0
	v_mad_co_u64_u32 v[53:54], null, s17, v16, v[15:16]
	v_mov_b32_e32 v15, v46
	v_add_co_u32 v4, vcc_lo, s8, v0
	s_wait_alu 0xfffd
	v_add_co_ci_u32_e32 v5, vcc_lo, s9, v1, vcc_lo
	s_clause 0x2
	global_load_b128 v[0:3], v[4:5], off offset:72
	global_load_b64 v[12:13], v[4:5], off offset:104
	global_load_b128 v[4:7], v[4:5], off offset:88
	v_mad_co_u64_u32 v[51:52], null, s16, v44, 0
	v_mov_b32_e32 v46, v48
	v_add3_u32 v11, v11, v40, v39
	v_mov_b32_e32 v48, v50
	v_mad_co_u64_u32 v[54:55], null, s17, v41, v[15:16]
	s_delay_alu instid0(VALU_DEP_4) | instskip(NEXT) | instid1(VALU_DEP_4)
	v_mad_co_u64_u32 v[41:42], null, s17, v42, v[46:47]
	v_lshlrev_b64_e32 v[10:11], 2, v[10:11]
	v_mov_b32_e32 v50, v52
	v_mad_co_u64_u32 v[42:43], null, s17, v43, v[48:49]
	v_lshlrev_b64_e32 v[8:9], 2, v[8:9]
	v_mov_b32_e32 v46, v54
	s_delay_alu instid0(VALU_DEP_4) | instskip(SKIP_4) | instid1(VALU_DEP_3)
	v_mad_co_u64_u32 v[43:44], null, s17, v44, v[50:51]
	v_add_co_u32 v44, vcc_lo, s6, v10
	s_wait_alu 0xfffd
	v_add_co_ci_u32_e32 v52, vcc_lo, s7, v11, vcc_lo
	v_mov_b32_e32 v50, v42
	v_add_co_u32 v44, vcc_lo, v44, v8
	v_dual_mov_b32 v15, v53 :: v_dual_add_nc_u32 v56, 0x87, v16
	v_mov_b32_e32 v48, v41
	s_wait_alu 0xfffd
	v_add_co_ci_u32_e32 v53, vcc_lo, v52, v9, vcc_lo
	v_lshlrev_b64_e32 v[8:9], 2, v[45:46]
	v_lshlrev_b64_e32 v[41:42], 2, v[49:50]
	;; [unrolled: 1-line block ×4, first 2 shown]
	v_mad_co_u64_u32 v[39:40], null, s16, v56, 0
	s_delay_alu instid0(VALU_DEP_3) | instskip(SKIP_1) | instid1(VALU_DEP_4)
	v_add_co_u32 v10, vcc_lo, v44, v10
	s_wait_alu 0xfffd
	v_add_co_ci_u32_e32 v11, vcc_lo, v53, v11, vcc_lo
	v_add_co_u32 v8, vcc_lo, v44, v8
	s_wait_alu 0xfffd
	v_add_co_ci_u32_e32 v9, vcc_lo, v53, v9, vcc_lo
	s_wait_loadcnt 0x2
	v_lshrrev_b32_e32 v45, 16, v0
	s_wait_loadcnt 0x1
	v_lshrrev_b32_e32 v50, 16, v13
	v_lshrrev_b32_e32 v46, 16, v1
	;; [unrolled: 1-line block ×4, first 2 shown]
	s_wait_dscnt 0x9
	v_mul_f16_e32 v58, v34, v45
	s_wait_dscnt 0x0
	v_mul_f16_e32 v59, v38, v50
	v_mul_f16_e32 v50, v31, v50
	;; [unrolled: 1-line block ×3, first 2 shown]
	v_lshrrev_b32_e32 v48, 16, v3
	s_wait_loadcnt 0x0
	v_lshrrev_b32_e32 v52, 16, v4
	v_mul_f16_e32 v60, v23, v46
	v_mul_f16_e32 v61, v37, v49
	;; [unrolled: 1-line block ×4, first 2 shown]
	v_fmac_f16_e32 v58, v29, v0
	v_fmac_f16_e32 v59, v31, v13
	v_fma_f16 v13, v38, v13, -v50
	v_fma_f16 v0, v34, v0, -v45
	v_lshrrev_b32_e32 v54, 16, v5
	v_lshrrev_b32_e32 v55, 16, v6
	;; [unrolled: 1-line block ×3, first 2 shown]
	v_mul_f16_e32 v62, v35, v47
	v_mul_f16_e32 v47, v26, v47
	;; [unrolled: 1-line block ×6, first 2 shown]
	v_fmac_f16_e32 v60, v18, v1
	v_fmac_f16_e32 v61, v30, v12
	v_fma_f16 v12, v37, v12, -v49
	v_fma_f16 v1, v23, v1, -v46
	v_add_f16_e32 v18, v0, v13
	v_sub_f16_e32 v29, v0, v13
	v_add_f16_e32 v0, v21, v0
	v_add_f16_e32 v31, v20, v58
	v_mul_f16_e32 v63, v24, v57
	v_mul_f16_e32 v57, v19, v57
	;; [unrolled: 1-line block ×6, first 2 shown]
	v_fmac_f16_e32 v62, v26, v2
	v_fma_f16 v2, v35, v2, -v47
	v_fmac_f16_e32 v64, v27, v3
	v_fma_f16 v3, v32, v3, -v48
	;; [unrolled: 2-line block ×3, first 2 shown]
	v_add_f16_e32 v22, v1, v12
	v_sub_f16_e32 v32, v1, v12
	v_add_f16_e32 v0, v0, v1
	v_add_f16_e32 v1, v31, v60
	v_fmac_f16_e32 v63, v19, v7
	v_fma_f16 v7, v24, v7, -v57
	v_fmac_f16_e32 v65, v28, v6
	v_fma_f16 v6, v36, v6, -v55
	;; [unrolled: 2-line block ×3, first 2 shown]
	v_add_f16_e32 v0, v0, v2
	v_add_f16_e32 v1, v1, v62
	v_sub_f16_e32 v17, v58, v59
	v_sub_f16_e32 v19, v60, v61
	;; [unrolled: 1-line block ×3, first 2 shown]
	v_add_f16_e32 v24, v2, v7
	v_sub_f16_e32 v25, v64, v65
	v_add_f16_e32 v26, v3, v6
	v_sub_f16_e32 v27, v66, v67
	v_add_f16_e32 v28, v4, v5
	v_add_f16_e32 v1, v1, v64
	;; [unrolled: 1-line block ×4, first 2 shown]
	v_sub_f16_e32 v34, v2, v7
	v_sub_f16_e32 v36, v3, v6
	;; [unrolled: 1-line block ×3, first 2 shown]
	v_mul_f16_e32 v46, 0xbbeb, v17
	v_mul_f16_e32 v47, 0x3482, v19
	;; [unrolled: 1-line block ×30, first 2 shown]
	v_add_f16_e32 v1, v1, v66
	v_add_f16_e32 v0, v0, v4
	v_add_f16_e32 v33, v60, v61
	v_add_f16_e32 v35, v62, v63
	v_add_f16_e32 v37, v64, v65
	v_add_f16_e32 v45, v66, v67
	v_mul_f16_e32 v31, 0x3853, v32
	v_mul_f16_e32 v60, 0x3482, v32
	;; [unrolled: 1-line block ×20, first 2 shown]
	v_fmamk_f16 v101, v18, 0xb08e, v46
	v_fmamk_f16 v102, v22, 0xbbad, v47
	;; [unrolled: 1-line block ×15, first 2 shown]
	v_fma_f16 v70, v18, 0xbbad, -v70
	v_fma_f16 v71, v22, 0x3abb, -v71
	;; [unrolled: 1-line block ×15, first 2 shown]
	v_fmamk_f16 v46, v17, 0x3b47, v76
	v_fmamk_f16 v47, v19, 0x3a0c, v77
	;; [unrolled: 1-line block ×6, first 2 shown]
	v_fmac_f16_e32 v76, 0xbb47, v17
	v_fmac_f16_e32 v81, 0xb853, v17
	v_fmamk_f16 v17, v19, 0x3b47, v82
	v_fmac_f16_e32 v77, 0xba0c, v19
	v_fmac_f16_e32 v82, 0xbb47, v19
	v_fmamk_f16 v19, v23, 0x3beb, v83
	v_fmac_f16_e32 v78, 0x3482, v23
	v_fmac_f16_e32 v83, 0xbbeb, v23
	v_fmamk_f16 v23, v25, 0x3a0c, v84
	v_fmac_f16_e32 v79, 0x3beb, v25
	v_fmac_f16_e32 v84, 0xba0c, v25
	v_fmamk_f16 v25, v27, 0x3482, v85
	v_fmac_f16_e32 v80, 0x3853, v27
	v_fmac_f16_e32 v85, 0xb482, v27
	v_fma_f16 v27, v30, 0xbbad, -v75
	v_fma_f16 v117, v30, 0xb93d, -v69
	;; [unrolled: 1-line block ×3, first 2 shown]
	v_fmac_f16_e32 v52, 0xb08e, v30
	v_fmamk_f16 v120, v30, 0x3abb, v29
	v_add_f16_e32 v1, v1, v67
	v_add_f16_e32 v0, v0, v5
	v_fmac_f16_e32 v75, 0xbbad, v30
	v_fmac_f16_e32 v69, 0xb93d, v30
	v_fmamk_f16 v119, v30, 0x36a6, v86
	v_fma_f16 v86, v30, 0x36a6, -v86
	v_fma_f16 v29, v30, 0x3abb, -v29
	;; [unrolled: 1-line block ×3, first 2 shown]
	v_fmac_f16_e32 v31, 0x3abb, v33
	v_fma_f16 v121, v33, 0xb08e, -v87
	v_fmac_f16_e32 v87, 0xb08e, v33
	v_fma_f16 v122, v33, 0xbbad, -v60
	v_fmac_f16_e32 v60, 0xbbad, v33
	v_fmamk_f16 v123, v33, 0xb93d, v88
	v_fma_f16 v88, v33, 0xb93d, -v88
	v_fmamk_f16 v124, v33, 0x36a6, v32
	v_fma_f16 v32, v33, 0x36a6, -v32
	v_fma_f16 v2, v35, 0xb93d, -v89
	v_fmac_f16_e32 v89, 0xb93d, v35
	v_fma_f16 v33, v35, 0x3abb, -v91
	v_fmac_f16_e32 v91, 0x3abb, v35
	;; [unrolled: 2-line block ×3, first 2 shown]
	v_fmamk_f16 v125, v35, 0xbbad, v92
	v_fma_f16 v92, v35, 0xbbad, -v92
	v_fmamk_f16 v126, v35, 0xb08e, v34
	v_fma_f16 v34, v35, 0xb08e, -v34
	v_fma_f16 v35, v37, 0x36a6, -v95
	v_fmac_f16_e32 v95, 0x36a6, v37
	v_fma_f16 v127, v37, 0xbbad, -v94
	v_fmac_f16_e32 v94, 0xbbad, v37
	;; [unrolled: 2-line block ×3, first 2 shown]
	v_fma_f16 v129, 0xb08e, v37, v96
	v_fma_f16 v96, v37, 0xb08e, -v96
	v_fma_f16 v130, 0xb93d, v37, v36
	v_fma_f16 v36, v37, 0xb93d, -v36
	v_fma_f16 v37, v45, 0xb08e, -v99
	v_fmac_f16_e32 v99, 0xb08e, v45
	v_fma_f16 v131, v45, 0x36a6, -v98
	v_fmac_f16_e32 v98, 0x36a6, v45
	;; [unrolled: 2-line block ×3, first 2 shown]
	v_fma_f16 v133, 0x3abb, v45, v100
	v_fma_f16 v100, v45, 0x3abb, -v100
	v_fma_f16 v134, 0xbbad, v45, v38
	v_fma_f16 v38, v45, 0xbbad, -v38
	v_add_f16_e32 v3, v21, v101
	v_add_f16_e32 v45, v21, v106
	;; [unrolled: 1-line block ×51, first 2 shown]
	v_add_f16_e64 v29, v29, v128
	v_add_f16_e32 v32, v32, v109
	v_add_f16_e32 v33, v33, v127
	;; [unrolled: 1-line block ×5, first 2 shown]
	v_add_f16_e64 v19, v19, v130
	v_add_f16_e32 v4, v76, v77
	v_add_f16_e32 v60, v86, v88
	;; [unrolled: 1-line block ×13, first 2 shown]
	v_add_f16_e64 v23, v29, v132
	v_add_f16_e32 v29, v32, v110
	v_add_f16_e64 v32, v33, v131
	v_add_f16_e32 v33, v34, v115
	v_add_f16_e32 v34, v2, v37
	;; [unrolled: 1-line block ×3, first 2 shown]
	v_add_f16_e64 v3, v19, v134
	v_add_f16_e32 v4, v4, v78
	v_add_f16_e32 v5, v60, v92
	;; [unrolled: 1-line block ×9, first 2 shown]
	v_add_f16_e64 v26, v46, v129
	v_pack_b32_f16 v0, v1, v0
	v_pack_b32_f16 v1, v3, v2
	v_mov_b32_e32 v52, v43
	v_add_f16_e32 v4, v4, v79
	v_add_f16_e32 v5, v5, v96
	;; [unrolled: 1-line block ×6, first 2 shown]
	v_add_f16_e64 v13, v26, v133
	s_clause 0x1
	global_store_b32 v[10:11], v0, off
	global_store_b32 v[8:9], v1, off
	v_add_co_u32 v0, vcc_lo, v44, v14
	v_lshlrev_b64_e32 v[2:3], 2, v[51:52]
	s_wait_alu 0xfffd
	v_add_co_ci_u32_e32 v1, vcc_lo, v53, v15, vcc_lo
	v_add_f16_e32 v17, v4, v80
	v_add_f16_e32 v19, v5, v100
	v_mov_b32_e32 v4, v40
	v_add_co_u32 v5, vcc_lo, v44, v41
	v_add_f16_e32 v31, v31, v68
	v_add_f16_e32 v35, v35, v98
	v_add_f16_e32 v12, v18, v28
	v_add_f16_e32 v18, v22, v97
	v_pack_b32_f16 v9, v13, v7
	v_add_f16_e32 v22, v6, v85
	s_wait_alu 0xfffd
	v_add_co_ci_u32_e32 v6, vcc_lo, v53, v42, vcc_lo
	v_add_co_u32 v2, vcc_lo, v44, v2
	v_mad_co_u64_u32 v[7:8], null, s17, v56, v[4:5]
	v_pack_b32_f16 v4, v18, v12
	s_wait_alu 0xfffd
	v_add_co_ci_u32_e32 v3, vcc_lo, v53, v3, vcc_lo
	v_pack_b32_f16 v8, v35, v31
	global_store_b32 v[0:1], v9, off
	v_add_nc_u32_e32 v9, 0xa2, v16
	v_add_nc_u32_e32 v10, 0xbd, v16
	;; [unrolled: 1-line block ×3, first 2 shown]
	s_clause 0x1
	global_store_b32 v[5:6], v4, off
	global_store_b32 v[2:3], v8, off
	v_mad_co_u64_u32 v[2:3], null, s16, v9, 0
	v_mad_co_u64_u32 v[4:5], null, s16, v10, 0
	v_mov_b32_e32 v40, v7
	v_mad_co_u64_u32 v[6:7], null, s16, v12, 0
	v_add_f16_e32 v27, v27, v73
	v_add_f16_e32 v30, v30, v95
	s_delay_alu instid0(VALU_DEP_4)
	v_lshlrev_b64_e32 v[0:1], 2, v[39:40]
	v_mad_co_u64_u32 v[8:9], null, s17, v9, v[3:4]
	v_add_nc_u32_e32 v14, 0xf3, v16
	v_mad_co_u64_u32 v[9:10], null, s17, v10, v[5:6]
	v_mov_b32_e32 v5, v7
	v_add_f16_e32 v27, v27, v74
	v_add_f16_e32 v30, v30, v99
	v_mad_co_u64_u32 v[10:11], null, s16, v14, 0
	v_add_co_u32 v0, vcc_lo, v44, v0
	v_mov_b32_e32 v3, v8
	v_mad_co_u64_u32 v[7:8], null, s17, v12, v[5:6]
	v_add_nc_u32_e32 v12, 0x10e, v16
	s_wait_alu 0xfffd
	v_add_co_ci_u32_e32 v1, vcc_lo, v53, v1, vcc_lo
	v_pack_b32_f16 v13, v30, v27
	v_mov_b32_e32 v5, v9
	v_mad_co_u64_u32 v[8:9], null, s16, v12, 0
	v_lshlrev_b64_e32 v[6:7], 2, v[6:7]
	global_store_b32 v[0:1], v13, off
	v_lshlrev_b64_e32 v[0:1], 2, v[2:3]
	v_mov_b32_e32 v2, v11
	v_lshlrev_b64_e32 v[4:5], 2, v[4:5]
	v_add_f16_e32 v20, v20, v36
	s_delay_alu instid0(VALU_DEP_3) | instskip(SKIP_4) | instid1(VALU_DEP_3)
	v_mad_co_u64_u32 v[2:3], null, s17, v14, v[2:3]
	v_mov_b32_e32 v3, v9
	v_add_co_u32 v0, vcc_lo, v44, v0
	s_wait_alu 0xfffd
	v_add_co_ci_u32_e32 v1, vcc_lo, v53, v1, vcc_lo
	v_mad_co_u64_u32 v[12:13], null, s17, v12, v[3:4]
	v_mov_b32_e32 v11, v2
	v_add_co_u32 v2, vcc_lo, v44, v4
	s_wait_alu 0xfffd
	v_add_co_ci_u32_e32 v3, vcc_lo, v53, v5, vcc_lo
	s_delay_alu instid0(VALU_DEP_3) | instskip(SKIP_4) | instid1(VALU_DEP_3)
	v_lshlrev_b64_e32 v[4:5], 2, v[10:11]
	v_mov_b32_e32 v9, v12
	v_add_co_u32 v6, vcc_lo, v44, v6
	s_wait_alu 0xfffd
	v_add_co_ci_u32_e32 v7, vcc_lo, v53, v7, vcc_lo
	v_lshlrev_b64_e32 v[8:9], 2, v[8:9]
	v_add_f16_e32 v20, v20, v38
	v_add_co_u32 v4, vcc_lo, v44, v4
	v_pack_b32_f16 v14, v34, v33
	v_pack_b32_f16 v13, v32, v29
	s_wait_alu 0xfffd
	v_add_co_ci_u32_e32 v5, vcc_lo, v53, v5, vcc_lo
	v_pack_b32_f16 v10, v23, v21
	v_add_co_u32 v8, vcc_lo, v44, v8
	v_pack_b32_f16 v11, v19, v17
	s_wait_alu 0xfffd
	v_add_co_ci_u32_e32 v9, vcc_lo, v53, v9, vcc_lo
	v_pack_b32_f16 v12, v20, v22
	s_clause 0x4
	global_store_b32 v[0:1], v14, off
	global_store_b32 v[2:3], v13, off
	;; [unrolled: 1-line block ×5, first 2 shown]
.LBB0_18:
	s_nop 0
	s_sendmsg sendmsg(MSG_DEALLOC_VGPRS)
	s_endpgm
	.section	.rodata,"a",@progbits
	.p2align	6, 0x0
	.amdhsa_kernel fft_rtc_back_len297_factors_9_3_11_wgs_231_tpt_33_halfLds_half_op_CI_CI_sbrr_dirReg
		.amdhsa_group_segment_fixed_size 0
		.amdhsa_private_segment_fixed_size 0
		.amdhsa_kernarg_size 104
		.amdhsa_user_sgpr_count 2
		.amdhsa_user_sgpr_dispatch_ptr 0
		.amdhsa_user_sgpr_queue_ptr 0
		.amdhsa_user_sgpr_kernarg_segment_ptr 1
		.amdhsa_user_sgpr_dispatch_id 0
		.amdhsa_user_sgpr_private_segment_size 0
		.amdhsa_wavefront_size32 1
		.amdhsa_uses_dynamic_stack 0
		.amdhsa_enable_private_segment 0
		.amdhsa_system_sgpr_workgroup_id_x 1
		.amdhsa_system_sgpr_workgroup_id_y 0
		.amdhsa_system_sgpr_workgroup_id_z 0
		.amdhsa_system_sgpr_workgroup_info 0
		.amdhsa_system_vgpr_workitem_id 0
		.amdhsa_next_free_vgpr 135
		.amdhsa_next_free_sgpr 43
		.amdhsa_reserve_vcc 1
		.amdhsa_float_round_mode_32 0
		.amdhsa_float_round_mode_16_64 0
		.amdhsa_float_denorm_mode_32 3
		.amdhsa_float_denorm_mode_16_64 3
		.amdhsa_fp16_overflow 0
		.amdhsa_workgroup_processor_mode 1
		.amdhsa_memory_ordered 1
		.amdhsa_forward_progress 0
		.amdhsa_round_robin_scheduling 0
		.amdhsa_exception_fp_ieee_invalid_op 0
		.amdhsa_exception_fp_denorm_src 0
		.amdhsa_exception_fp_ieee_div_zero 0
		.amdhsa_exception_fp_ieee_overflow 0
		.amdhsa_exception_fp_ieee_underflow 0
		.amdhsa_exception_fp_ieee_inexact 0
		.amdhsa_exception_int_div_zero 0
	.end_amdhsa_kernel
	.text
.Lfunc_end0:
	.size	fft_rtc_back_len297_factors_9_3_11_wgs_231_tpt_33_halfLds_half_op_CI_CI_sbrr_dirReg, .Lfunc_end0-fft_rtc_back_len297_factors_9_3_11_wgs_231_tpt_33_halfLds_half_op_CI_CI_sbrr_dirReg
                                        ; -- End function
	.section	.AMDGPU.csdata,"",@progbits
; Kernel info:
; codeLenInByte = 7676
; NumSgprs: 45
; NumVgprs: 135
; ScratchSize: 0
; MemoryBound: 0
; FloatMode: 240
; IeeeMode: 1
; LDSByteSize: 0 bytes/workgroup (compile time only)
; SGPRBlocks: 5
; VGPRBlocks: 16
; NumSGPRsForWavesPerEU: 45
; NumVGPRsForWavesPerEU: 135
; Occupancy: 10
; WaveLimiterHint : 1
; COMPUTE_PGM_RSRC2:SCRATCH_EN: 0
; COMPUTE_PGM_RSRC2:USER_SGPR: 2
; COMPUTE_PGM_RSRC2:TRAP_HANDLER: 0
; COMPUTE_PGM_RSRC2:TGID_X_EN: 1
; COMPUTE_PGM_RSRC2:TGID_Y_EN: 0
; COMPUTE_PGM_RSRC2:TGID_Z_EN: 0
; COMPUTE_PGM_RSRC2:TIDIG_COMP_CNT: 0
	.text
	.p2alignl 7, 3214868480
	.fill 96, 4, 3214868480
	.type	__hip_cuid_b8f9c2a8ff7f9aea,@object ; @__hip_cuid_b8f9c2a8ff7f9aea
	.section	.bss,"aw",@nobits
	.globl	__hip_cuid_b8f9c2a8ff7f9aea
__hip_cuid_b8f9c2a8ff7f9aea:
	.byte	0                               ; 0x0
	.size	__hip_cuid_b8f9c2a8ff7f9aea, 1

	.ident	"AMD clang version 19.0.0git (https://github.com/RadeonOpenCompute/llvm-project roc-6.4.0 25133 c7fe45cf4b819c5991fe208aaa96edf142730f1d)"
	.section	".note.GNU-stack","",@progbits
	.addrsig
	.addrsig_sym __hip_cuid_b8f9c2a8ff7f9aea
	.amdgpu_metadata
---
amdhsa.kernels:
  - .args:
      - .actual_access:  read_only
        .address_space:  global
        .offset:         0
        .size:           8
        .value_kind:     global_buffer
      - .offset:         8
        .size:           8
        .value_kind:     by_value
      - .actual_access:  read_only
        .address_space:  global
        .offset:         16
        .size:           8
        .value_kind:     global_buffer
      - .actual_access:  read_only
        .address_space:  global
        .offset:         24
        .size:           8
        .value_kind:     global_buffer
      - .actual_access:  read_only
        .address_space:  global
        .offset:         32
        .size:           8
        .value_kind:     global_buffer
      - .offset:         40
        .size:           8
        .value_kind:     by_value
      - .actual_access:  read_only
        .address_space:  global
        .offset:         48
        .size:           8
        .value_kind:     global_buffer
      - .actual_access:  read_only
        .address_space:  global
        .offset:         56
        .size:           8
        .value_kind:     global_buffer
      - .offset:         64
        .size:           4
        .value_kind:     by_value
      - .actual_access:  read_only
        .address_space:  global
        .offset:         72
        .size:           8
        .value_kind:     global_buffer
      - .actual_access:  read_only
        .address_space:  global
        .offset:         80
        .size:           8
        .value_kind:     global_buffer
      - .actual_access:  read_only
        .address_space:  global
        .offset:         88
        .size:           8
        .value_kind:     global_buffer
      - .actual_access:  write_only
        .address_space:  global
        .offset:         96
        .size:           8
        .value_kind:     global_buffer
    .group_segment_fixed_size: 0
    .kernarg_segment_align: 8
    .kernarg_segment_size: 104
    .language:       OpenCL C
    .language_version:
      - 2
      - 0
    .max_flat_workgroup_size: 231
    .name:           fft_rtc_back_len297_factors_9_3_11_wgs_231_tpt_33_halfLds_half_op_CI_CI_sbrr_dirReg
    .private_segment_fixed_size: 0
    .sgpr_count:     45
    .sgpr_spill_count: 0
    .symbol:         fft_rtc_back_len297_factors_9_3_11_wgs_231_tpt_33_halfLds_half_op_CI_CI_sbrr_dirReg.kd
    .uniform_work_group_size: 1
    .uses_dynamic_stack: false
    .vgpr_count:     135
    .vgpr_spill_count: 0
    .wavefront_size: 32
    .workgroup_processor_mode: 1
amdhsa.target:   amdgcn-amd-amdhsa--gfx1201
amdhsa.version:
  - 1
  - 2
...

	.end_amdgpu_metadata
